;; amdgpu-corpus repo=ROCm/rocFFT kind=compiled arch=gfx906 opt=O3
	.text
	.amdgcn_target "amdgcn-amd-amdhsa--gfx906"
	.amdhsa_code_object_version 6
	.protected	fft_rtc_back_len1170_factors_2_13_3_5_3_wgs_117_tpt_117_sp_ip_CI_sbrr_dirReg ; -- Begin function fft_rtc_back_len1170_factors_2_13_3_5_3_wgs_117_tpt_117_sp_ip_CI_sbrr_dirReg
	.globl	fft_rtc_back_len1170_factors_2_13_3_5_3_wgs_117_tpt_117_sp_ip_CI_sbrr_dirReg
	.p2align	8
	.type	fft_rtc_back_len1170_factors_2_13_3_5_3_wgs_117_tpt_117_sp_ip_CI_sbrr_dirReg,@function
fft_rtc_back_len1170_factors_2_13_3_5_3_wgs_117_tpt_117_sp_ip_CI_sbrr_dirReg: ; @fft_rtc_back_len1170_factors_2_13_3_5_3_wgs_117_tpt_117_sp_ip_CI_sbrr_dirReg
; %bb.0:
	s_load_dwordx2 s[2:3], s[4:5], 0x18
	s_load_dwordx4 s[8:11], s[4:5], 0x0
	s_load_dwordx2 s[14:15], s[4:5], 0x50
	v_mul_u32_u24_e32 v1, 0x231, v0
	v_add_u32_sdwa v5, s6, v1 dst_sel:DWORD dst_unused:UNUSED_PAD src0_sel:DWORD src1_sel:WORD_1
	s_waitcnt lgkmcnt(0)
	s_load_dwordx2 s[12:13], s[2:3], 0x0
	v_cmp_lt_u64_e64 s[0:1], s[10:11], 2
	v_mov_b32_e32 v3, 0
	v_mov_b32_e32 v1, 0
	;; [unrolled: 1-line block ×3, first 2 shown]
	s_and_b64 vcc, exec, s[0:1]
	v_mov_b32_e32 v2, 0
	s_cbranch_vccnz .LBB0_8
; %bb.1:
	s_load_dwordx2 s[0:1], s[4:5], 0x10
	s_add_u32 s6, s2, 8
	s_addc_u32 s7, s3, 0
	v_mov_b32_e32 v1, 0
	v_mov_b32_e32 v2, 0
	s_waitcnt lgkmcnt(0)
	s_add_u32 s16, s0, 8
	s_addc_u32 s17, s1, 0
	s_mov_b64 s[18:19], 1
.LBB0_2:                                ; =>This Inner Loop Header: Depth=1
	s_load_dwordx2 s[20:21], s[16:17], 0x0
                                        ; implicit-def: $vgpr7_vgpr8
	s_waitcnt lgkmcnt(0)
	v_or_b32_e32 v4, s21, v6
	v_cmp_ne_u64_e32 vcc, 0, v[3:4]
	s_and_saveexec_b64 s[0:1], vcc
	s_xor_b64 s[22:23], exec, s[0:1]
	s_cbranch_execz .LBB0_4
; %bb.3:                                ;   in Loop: Header=BB0_2 Depth=1
	v_cvt_f32_u32_e32 v4, s20
	v_cvt_f32_u32_e32 v7, s21
	s_sub_u32 s0, 0, s20
	s_subb_u32 s1, 0, s21
	v_mac_f32_e32 v4, 0x4f800000, v7
	v_rcp_f32_e32 v4, v4
	v_mul_f32_e32 v4, 0x5f7ffffc, v4
	v_mul_f32_e32 v7, 0x2f800000, v4
	v_trunc_f32_e32 v7, v7
	v_mac_f32_e32 v4, 0xcf800000, v7
	v_cvt_u32_f32_e32 v7, v7
	v_cvt_u32_f32_e32 v4, v4
	v_mul_lo_u32 v8, s0, v7
	v_mul_hi_u32 v9, s0, v4
	v_mul_lo_u32 v11, s1, v4
	v_mul_lo_u32 v10, s0, v4
	v_add_u32_e32 v8, v9, v8
	v_add_u32_e32 v8, v8, v11
	v_mul_hi_u32 v9, v4, v10
	v_mul_lo_u32 v11, v4, v8
	v_mul_hi_u32 v13, v4, v8
	v_mul_hi_u32 v12, v7, v10
	v_mul_lo_u32 v10, v7, v10
	v_mul_hi_u32 v14, v7, v8
	v_add_co_u32_e32 v9, vcc, v9, v11
	v_addc_co_u32_e32 v11, vcc, 0, v13, vcc
	v_mul_lo_u32 v8, v7, v8
	v_add_co_u32_e32 v9, vcc, v9, v10
	v_addc_co_u32_e32 v9, vcc, v11, v12, vcc
	v_addc_co_u32_e32 v10, vcc, 0, v14, vcc
	v_add_co_u32_e32 v8, vcc, v9, v8
	v_addc_co_u32_e32 v9, vcc, 0, v10, vcc
	v_add_co_u32_e32 v4, vcc, v4, v8
	v_addc_co_u32_e32 v7, vcc, v7, v9, vcc
	v_mul_lo_u32 v8, s0, v7
	v_mul_hi_u32 v9, s0, v4
	v_mul_lo_u32 v10, s1, v4
	v_mul_lo_u32 v11, s0, v4
	v_add_u32_e32 v8, v9, v8
	v_add_u32_e32 v8, v8, v10
	v_mul_lo_u32 v12, v4, v8
	v_mul_hi_u32 v13, v4, v11
	v_mul_hi_u32 v14, v4, v8
	;; [unrolled: 1-line block ×3, first 2 shown]
	v_mul_lo_u32 v11, v7, v11
	v_mul_hi_u32 v9, v7, v8
	v_add_co_u32_e32 v12, vcc, v13, v12
	v_addc_co_u32_e32 v13, vcc, 0, v14, vcc
	v_mul_lo_u32 v8, v7, v8
	v_add_co_u32_e32 v11, vcc, v12, v11
	v_addc_co_u32_e32 v10, vcc, v13, v10, vcc
	v_addc_co_u32_e32 v9, vcc, 0, v9, vcc
	v_add_co_u32_e32 v8, vcc, v10, v8
	v_addc_co_u32_e32 v9, vcc, 0, v9, vcc
	v_add_co_u32_e32 v4, vcc, v4, v8
	v_addc_co_u32_e32 v9, vcc, v7, v9, vcc
	v_mad_u64_u32 v[7:8], s[0:1], v5, v9, 0
	v_mul_hi_u32 v10, v5, v4
	v_add_co_u32_e32 v11, vcc, v10, v7
	v_addc_co_u32_e32 v12, vcc, 0, v8, vcc
	v_mad_u64_u32 v[7:8], s[0:1], v6, v4, 0
	v_mad_u64_u32 v[9:10], s[0:1], v6, v9, 0
	v_add_co_u32_e32 v4, vcc, v11, v7
	v_addc_co_u32_e32 v4, vcc, v12, v8, vcc
	v_addc_co_u32_e32 v7, vcc, 0, v10, vcc
	v_add_co_u32_e32 v4, vcc, v4, v9
	v_addc_co_u32_e32 v9, vcc, 0, v7, vcc
	v_mul_lo_u32 v10, s21, v4
	v_mul_lo_u32 v11, s20, v9
	v_mad_u64_u32 v[7:8], s[0:1], s20, v4, 0
	v_add3_u32 v8, v8, v11, v10
	v_sub_u32_e32 v10, v6, v8
	v_mov_b32_e32 v11, s21
	v_sub_co_u32_e32 v7, vcc, v5, v7
	v_subb_co_u32_e64 v10, s[0:1], v10, v11, vcc
	v_subrev_co_u32_e64 v11, s[0:1], s20, v7
	v_subbrev_co_u32_e64 v10, s[0:1], 0, v10, s[0:1]
	v_cmp_le_u32_e64 s[0:1], s21, v10
	v_cndmask_b32_e64 v12, 0, -1, s[0:1]
	v_cmp_le_u32_e64 s[0:1], s20, v11
	v_cndmask_b32_e64 v11, 0, -1, s[0:1]
	v_cmp_eq_u32_e64 s[0:1], s21, v10
	v_cndmask_b32_e64 v10, v12, v11, s[0:1]
	v_add_co_u32_e64 v11, s[0:1], 2, v4
	v_addc_co_u32_e64 v12, s[0:1], 0, v9, s[0:1]
	v_add_co_u32_e64 v13, s[0:1], 1, v4
	v_addc_co_u32_e64 v14, s[0:1], 0, v9, s[0:1]
	v_subb_co_u32_e32 v8, vcc, v6, v8, vcc
	v_cmp_ne_u32_e64 s[0:1], 0, v10
	v_cmp_le_u32_e32 vcc, s21, v8
	v_cndmask_b32_e64 v10, v14, v12, s[0:1]
	v_cndmask_b32_e64 v12, 0, -1, vcc
	v_cmp_le_u32_e32 vcc, s20, v7
	v_cndmask_b32_e64 v7, 0, -1, vcc
	v_cmp_eq_u32_e32 vcc, s21, v8
	v_cndmask_b32_e32 v7, v12, v7, vcc
	v_cmp_ne_u32_e32 vcc, 0, v7
	v_cndmask_b32_e64 v7, v13, v11, s[0:1]
	v_cndmask_b32_e32 v8, v9, v10, vcc
	v_cndmask_b32_e32 v7, v4, v7, vcc
.LBB0_4:                                ;   in Loop: Header=BB0_2 Depth=1
	s_andn2_saveexec_b64 s[0:1], s[22:23]
	s_cbranch_execz .LBB0_6
; %bb.5:                                ;   in Loop: Header=BB0_2 Depth=1
	v_cvt_f32_u32_e32 v4, s20
	s_sub_i32 s22, 0, s20
	v_rcp_iflag_f32_e32 v4, v4
	v_mul_f32_e32 v4, 0x4f7ffffe, v4
	v_cvt_u32_f32_e32 v4, v4
	v_mul_lo_u32 v7, s22, v4
	v_mul_hi_u32 v7, v4, v7
	v_add_u32_e32 v4, v4, v7
	v_mul_hi_u32 v4, v5, v4
	v_mul_lo_u32 v7, v4, s20
	v_add_u32_e32 v8, 1, v4
	v_sub_u32_e32 v7, v5, v7
	v_subrev_u32_e32 v9, s20, v7
	v_cmp_le_u32_e32 vcc, s20, v7
	v_cndmask_b32_e32 v7, v7, v9, vcc
	v_cndmask_b32_e32 v4, v4, v8, vcc
	v_add_u32_e32 v8, 1, v4
	v_cmp_le_u32_e32 vcc, s20, v7
	v_cndmask_b32_e32 v7, v4, v8, vcc
	v_mov_b32_e32 v8, v3
.LBB0_6:                                ;   in Loop: Header=BB0_2 Depth=1
	s_or_b64 exec, exec, s[0:1]
	v_mul_lo_u32 v4, v8, s20
	v_mul_lo_u32 v11, v7, s21
	v_mad_u64_u32 v[9:10], s[0:1], v7, s20, 0
	s_load_dwordx2 s[0:1], s[6:7], 0x0
	s_add_u32 s18, s18, 1
	v_add3_u32 v4, v10, v11, v4
	v_sub_co_u32_e32 v5, vcc, v5, v9
	v_subb_co_u32_e32 v4, vcc, v6, v4, vcc
	s_waitcnt lgkmcnt(0)
	v_mul_lo_u32 v4, s0, v4
	v_mul_lo_u32 v6, s1, v5
	v_mad_u64_u32 v[1:2], s[0:1], s0, v5, v[1:2]
	s_addc_u32 s19, s19, 0
	s_add_u32 s6, s6, 8
	v_add3_u32 v2, v6, v2, v4
	v_mov_b32_e32 v4, s10
	v_mov_b32_e32 v5, s11
	s_addc_u32 s7, s7, 0
	v_cmp_ge_u64_e32 vcc, s[18:19], v[4:5]
	s_add_u32 s16, s16, 8
	s_addc_u32 s17, s17, 0
	s_cbranch_vccnz .LBB0_9
; %bb.7:                                ;   in Loop: Header=BB0_2 Depth=1
	v_mov_b32_e32 v5, v7
	v_mov_b32_e32 v6, v8
	s_branch .LBB0_2
.LBB0_8:
	v_mov_b32_e32 v8, v6
	v_mov_b32_e32 v7, v5
.LBB0_9:
	s_lshl_b64 s[0:1], s[10:11], 3
	s_add_u32 s0, s2, s0
	s_addc_u32 s1, s3, s1
	s_load_dwordx2 s[2:3], s[0:1], 0x0
	s_load_dwordx2 s[6:7], s[4:5], 0x20
                                        ; implicit-def: $sgpr4_sgpr5
                                        ; implicit-def: $vgpr30
                                        ; implicit-def: $vgpr31
                                        ; implicit-def: $vgpr29
                                        ; implicit-def: $vgpr32
	s_waitcnt lgkmcnt(0)
	v_mad_u64_u32 v[2:3], s[0:1], s2, v7, v[1:2]
	s_mov_b32 s0, 0x2302303
	v_mul_hi_u32 v1, v0, s0
	v_mul_lo_u32 v4, s2, v8
	v_mul_lo_u32 v5, s3, v7
	v_cmp_gt_u64_e32 vcc, s[6:7], v[7:8]
	v_cmp_le_u64_e64 s[0:1], s[6:7], v[7:8]
	v_mul_u32_u24_e32 v1, 0x75, v1
	v_add3_u32 v3, v5, v3, v4
	v_sub_u32_e32 v28, v0, v1
	s_and_saveexec_b64 s[2:3], s[0:1]
	s_xor_b64 s[0:1], exec, s[2:3]
; %bb.10:
	v_add_u32_e32 v30, 0x75, v28
	v_add_u32_e32 v31, 0xea, v28
	;; [unrolled: 1-line block ×4, first 2 shown]
	s_mov_b64 s[4:5], 0
; %bb.11:
	s_or_saveexec_b64 s[2:3], s[0:1]
	v_mov_b32_e32 v0, s4
	v_lshlrev_b64 v[24:25], 3, v[2:3]
	v_mov_b32_e32 v11, s5
	v_mov_b32_e32 v15, s5
	;; [unrolled: 1-line block ×9, first 2 shown]
                                        ; implicit-def: $vgpr3
                                        ; implicit-def: $vgpr5
                                        ; implicit-def: $vgpr9
                                        ; implicit-def: $vgpr17
                                        ; implicit-def: $vgpr13
	s_xor_b64 exec, exec, s[2:3]
	s_cbranch_execz .LBB0_13
; %bb.12:
	v_mad_u64_u32 v[0:1], s[0:1], s12, v28, 0
	v_add_u32_e32 v5, 0x249, v28
	v_mov_b32_e32 v4, s15
	v_mad_u64_u32 v[1:2], s[0:1], s13, v28, v[1:2]
	v_mad_u64_u32 v[2:3], s[0:1], s12, v5, 0
	v_add_co_u32_e64 v10, s[0:1], s14, v24
	v_addc_co_u32_e64 v11, s[0:1], v4, v25, s[0:1]
	v_mad_u64_u32 v[3:4], s[0:1], s13, v5, v[3:4]
	v_add_u32_e32 v30, 0x75, v28
	v_mad_u64_u32 v[4:5], s[0:1], s12, v30, 0
	v_lshlrev_b64 v[0:1], 3, v[0:1]
	v_add_u32_e32 v31, 0xea, v28
	v_add_co_u32_e64 v6, s[0:1], v10, v0
	v_addc_co_u32_e64 v7, s[0:1], v11, v1, s[0:1]
	v_lshlrev_b64 v[0:1], 3, v[2:3]
	v_mov_b32_e32 v2, v5
	v_mad_u64_u32 v[2:3], s[0:1], s13, v30, v[2:3]
	v_add_u32_e32 v3, 0x2be, v28
	v_mad_u64_u32 v[8:9], s[0:1], s12, v3, 0
	v_add_co_u32_e64 v22, s[0:1], v10, v0
	v_mov_b32_e32 v5, v2
	v_mov_b32_e32 v2, v9
	v_addc_co_u32_e64 v23, s[0:1], v11, v1, s[0:1]
	v_mad_u64_u32 v[2:3], s[0:1], s13, v3, v[2:3]
	v_lshlrev_b64 v[0:1], 3, v[4:5]
	v_mad_u64_u32 v[3:4], s[0:1], s12, v31, 0
	v_add_co_u32_e64 v26, s[0:1], v10, v0
	v_mov_b32_e32 v9, v2
	v_mov_b32_e32 v2, v4
	v_addc_co_u32_e64 v27, s[0:1], v11, v1, s[0:1]
	v_mad_u64_u32 v[4:5], s[0:1], s13, v31, v[2:3]
	v_add_u32_e32 v5, 0x333, v28
	v_lshlrev_b64 v[0:1], 3, v[8:9]
	v_mad_u64_u32 v[8:9], s[0:1], s12, v5, 0
	v_add_co_u32_e64 v33, s[0:1], v10, v0
	v_mov_b32_e32 v2, v9
	v_addc_co_u32_e64 v34, s[0:1], v11, v1, s[0:1]
	v_lshlrev_b64 v[0:1], 3, v[3:4]
	v_mad_u64_u32 v[2:3], s[0:1], s13, v5, v[2:3]
	v_add_u32_e32 v29, 0x15f, v28
	v_mad_u64_u32 v[3:4], s[0:1], s12, v29, 0
	v_add_co_u32_e64 v35, s[0:1], v10, v0
	v_mov_b32_e32 v9, v2
	v_mov_b32_e32 v2, v4
	v_addc_co_u32_e64 v36, s[0:1], v11, v1, s[0:1]
	v_mad_u64_u32 v[4:5], s[0:1], s13, v29, v[2:3]
	v_add_u32_e32 v5, 0x3a8, v28
	v_lshlrev_b64 v[0:1], 3, v[8:9]
	v_mad_u64_u32 v[8:9], s[0:1], s12, v5, 0
	v_add_co_u32_e64 v37, s[0:1], v10, v0
	v_mov_b32_e32 v2, v9
	v_addc_co_u32_e64 v38, s[0:1], v11, v1, s[0:1]
	v_lshlrev_b64 v[0:1], 3, v[3:4]
	v_mad_u64_u32 v[2:3], s[0:1], s13, v5, v[2:3]
	v_add_u32_e32 v32, 0x1d4, v28
	v_mad_u64_u32 v[3:4], s[0:1], s12, v32, 0
	v_add_co_u32_e64 v39, s[0:1], v10, v0
	v_mov_b32_e32 v9, v2
	v_mov_b32_e32 v2, v4
	v_addc_co_u32_e64 v40, s[0:1], v11, v1, s[0:1]
	v_mad_u64_u32 v[4:5], s[0:1], s13, v32, v[2:3]
	v_add_u32_e32 v5, 0x41d, v28
	v_lshlrev_b64 v[0:1], 3, v[8:9]
	v_mad_u64_u32 v[8:9], s[0:1], s12, v5, 0
	v_add_co_u32_e64 v41, s[0:1], v10, v0
	v_mov_b32_e32 v2, v9
	v_addc_co_u32_e64 v42, s[0:1], v11, v1, s[0:1]
	v_lshlrev_b64 v[0:1], 3, v[3:4]
	v_mad_u64_u32 v[2:3], s[0:1], s13, v5, v[2:3]
	v_add_co_u32_e64 v43, s[0:1], v10, v0
	v_mov_b32_e32 v9, v2
	v_addc_co_u32_e64 v44, s[0:1], v11, v1, s[0:1]
	v_lshlrev_b64 v[0:1], 3, v[8:9]
	v_add_co_u32_e64 v45, s[0:1], v10, v0
	v_addc_co_u32_e64 v46, s[0:1], v11, v1, s[0:1]
	global_load_dwordx2 v[0:1], v[6:7], off
	global_load_dwordx2 v[2:3], v[22:23], off
	;; [unrolled: 1-line block ×10, first 2 shown]
.LBB0_13:
	s_or_b64 exec, exec, s[2:3]
	s_waitcnt vmcnt(6)
	v_sub_f32_e32 v6, v10, v4
	v_sub_f32_e32 v7, v11, v5
	v_fma_f32 v4, v10, 2.0, -v6
	v_fma_f32 v5, v11, 2.0, -v7
	s_waitcnt vmcnt(4)
	v_sub_f32_e32 v10, v14, v8
	v_sub_f32_e32 v11, v15, v9
	v_fma_f32 v8, v14, 2.0, -v10
	v_fma_f32 v9, v15, 2.0, -v11
	s_waitcnt vmcnt(2)
	v_sub_f32_e32 v14, v18, v12
	v_sub_f32_e32 v15, v19, v13
	;; [unrolled: 1-line block ×4, first 2 shown]
	v_fma_f32 v12, v18, 2.0, -v14
	v_fma_f32 v13, v19, 2.0, -v15
	s_waitcnt vmcnt(0)
	v_sub_f32_e32 v18, v20, v16
	v_sub_f32_e32 v19, v21, v17
	v_fma_f32 v0, v0, 2.0, -v2
	v_fma_f32 v1, v1, 2.0, -v3
	;; [unrolled: 1-line block ×4, first 2 shown]
	v_lshl_add_u32 v20, v28, 4, 0
	v_lshl_add_u32 v21, v30, 4, 0
	ds_write2_b64 v20, v[0:1], v[2:3] offset1:1
	ds_write2_b64 v21, v[4:5], v[6:7] offset1:1
	v_lshl_add_u32 v21, v31, 4, 0
	ds_write2_b64 v21, v[8:9], v[10:11] offset1:1
	v_lshl_add_u32 v21, v29, 4, 0
	s_movk_i32 s0, 0x5a
	ds_write2_b64 v21, v[12:13], v[14:15] offset1:1
	v_lshl_add_u32 v21, v32, 4, 0
	v_cmp_gt_u32_e64 s[0:1], s0, v28
	ds_write2_b64 v21, v[16:17], v[18:19] offset1:1
	s_waitcnt lgkmcnt(0)
	s_barrier
	s_waitcnt lgkmcnt(0)
                                        ; implicit-def: $vgpr27
                                        ; implicit-def: $vgpr23
	s_and_saveexec_b64 s[2:3], s[0:1]
	s_cbranch_execz .LBB0_15
; %bb.14:
	v_lshlrev_b32_e32 v0, 3, v28
	v_sub_u32_e32 v26, v20, v0
	v_add_u32_e32 v4, 0x400, v26
	v_add_u32_e32 v8, 0x800, v26
	;; [unrolled: 1-line block ×5, first 2 shown]
	ds_read2_b64 v[0:3], v26 offset1:90
	ds_read2_b64 v[4:7], v4 offset0:52 offset1:142
	ds_read2_b64 v[8:11], v8 offset0:104 offset1:194
	;; [unrolled: 1-line block ×5, first 2 shown]
	ds_read_b64 v[26:27], v26 offset:8640
.LBB0_15:
	s_or_b64 exec, exec, s[2:3]
	v_and_b32_e32 v33, 1, v28
	v_mul_u32_u24_e32 v34, 12, v33
	v_lshlrev_b32_e32 v34, 3, v34
	global_load_dwordx4 v[46:49], v34, s[8:9] offset:80
	global_load_dwordx4 v[50:53], v34, s[8:9] offset:64
	;; [unrolled: 1-line block ×5, first 2 shown]
	global_load_dwordx4 v[66:69], v34, s[8:9]
	s_mov_b32 s4, 0x3f116cb1
	s_mov_b32 s5, 0xbeb58ec6
	;; [unrolled: 1-line block ×6, first 2 shown]
	s_waitcnt vmcnt(0) lgkmcnt(0)
	s_barrier
	v_mul_f32_e32 v34, v27, v49
	v_mul_f32_e32 v49, v26, v49
	v_mul_f32_e32 v35, v23, v47
	v_mul_f32_e32 v47, v22, v47
	v_mul_f32_e32 v37, v19, v51
	v_mul_f32_e32 v45, v3, v67
	v_mul_f32_e32 v67, v2, v67
	v_mul_f32_e32 v51, v18, v51
	v_mul_f32_e32 v44, v5, v69
	v_mul_f32_e32 v69, v4, v69
	v_fmac_f32_e32 v34, v26, v48
	v_fma_f32 v26, v27, v48, -v49
	v_fmac_f32_e32 v35, v22, v46
	v_fma_f32 v22, v23, v46, -v47
	v_fma_f32 v46, v3, v66, -v67
	v_mul_f32_e32 v36, v21, v53
	v_mul_f32_e32 v53, v20, v53
	;; [unrolled: 1-line block ×10, first 2 shown]
	v_fmac_f32_e32 v37, v18, v50
	v_fma_f32 v18, v19, v50, -v51
	v_fma_f32 v27, v5, v68, -v69
	v_fmac_f32_e32 v45, v2, v66
	v_sub_f32_e32 v50, v46, v26
	v_mul_f32_e32 v42, v9, v65
	v_mul_f32_e32 v65, v8, v65
	v_fmac_f32_e32 v36, v20, v52
	v_fma_f32 v20, v21, v52, -v53
	v_fma_f32 v21, v15, v54, -v55
	v_fmac_f32_e32 v40, v12, v60
	v_fma_f32 v23, v13, v60, -v61
	v_fmac_f32_e32 v41, v10, v58
	v_fma_f32 v10, v11, v58, -v59
	v_fma_f32 v11, v7, v62, -v63
	v_fmac_f32_e32 v44, v4, v68
	v_add_f32_e32 v2, v45, v34
	v_sub_f32_e32 v49, v27, v22
	v_add_f32_e32 v55, v46, v26
	v_mul_f32_e32 v60, 0xbf52af12, v50
	v_fmac_f32_e32 v39, v14, v54
	v_fmac_f32_e32 v42, v8, v64
	v_fma_f32 v8, v9, v64, -v65
	v_fmac_f32_e32 v43, v6, v62
	v_add_f32_e32 v3, v44, v35
	v_add_f32_e32 v54, v27, v22
	v_sub_f32_e32 v52, v11, v20
	v_mul_f32_e32 v59, 0xbf6f5d39, v49
	v_mul_f32_e32 v64, 0x3f116cb1, v55
	v_fma_f32 v9, v2, s4, -v60
	v_mul_f32_e32 v38, v17, v57
	v_mul_f32_e32 v57, v16, v57
	v_sub_f32_e32 v6, v45, v34
	v_add_f32_e32 v4, v43, v36
	v_mul_f32_e32 v62, 0xbeb58ec6, v54
	v_mul_f32_e32 v61, 0xbe750f2a, v52
	v_fma_f32 v12, v3, s5, -v59
	v_mov_b32_e32 v13, v64
	v_add_f32_e32 v9, v0, v9
	v_fma_f32 v19, v17, v56, -v57
	v_sub_f32_e32 v5, v44, v35
	v_add_f32_e32 v57, v11, v20
	v_mov_b32_e32 v14, v62
	v_fma_f32 v15, v4, s6, -v61
	v_fmac_f32_e32 v13, 0xbf52af12, v6
	v_add_f32_e32 v9, v12, v9
	v_sub_f32_e32 v58, v8, v18
	v_mul_f32_e32 v63, 0xbf788fa5, v57
	v_fmac_f32_e32 v14, 0xbf6f5d39, v5
	v_add_f32_e32 v12, v1, v13
	v_add_f32_e32 v13, v15, v9
	;; [unrolled: 1-line block ×3, first 2 shown]
	v_mul_f32_e32 v67, 0x3f29c268, v58
	v_add_f32_e32 v66, v8, v18
	v_fmac_f32_e32 v38, v16, v56
	v_sub_f32_e32 v7, v43, v36
	v_mov_b32_e32 v16, v63
	v_add_f32_e32 v12, v14, v12
	v_fma_f32 v14, v9, s7, -v67
	v_mul_f32_e32 v70, 0xbf3f9e67, v66
	v_fmac_f32_e32 v16, 0xbe750f2a, v7
	v_add_f32_e32 v13, v14, v13
	v_sub_f32_e32 v47, v42, v37
	v_mov_b32_e32 v14, v70
	v_sub_f32_e32 v65, v10, v19
	v_add_f32_e32 v12, v16, v12
	v_fmac_f32_e32 v14, 0x3f29c268, v47
	v_add_f32_e32 v48, v41, v38
	v_mul_f32_e32 v71, 0x3f7e222b, v65
	v_add_f32_e32 v69, v10, v19
	v_add_f32_e32 v12, v14, v12
	v_fma_f32 v14, v48, s10, -v71
	v_mul_f32_e32 v73, 0x3df6dbef, v69
	v_add_f32_e32 v13, v14, v13
	v_sub_f32_e32 v51, v41, v38
	v_mov_b32_e32 v14, v73
	v_sub_f32_e32 v68, v23, v21
	v_fmac_f32_e32 v14, 0x3f7e222b, v51
	v_add_f32_e32 v53, v40, v39
	v_mul_f32_e32 v74, 0x3eedf032, v68
	v_add_f32_e32 v72, v23, v21
	v_add_f32_e32 v14, v14, v12
	v_fma_f32 v12, v53, s11, -v74
	v_mul_f32_e32 v75, 0x3f62ad3f, v72
	v_add_f32_e32 v12, v12, v13
	v_sub_f32_e32 v56, v40, v39
	v_mov_b32_e32 v13, v75
	v_fmac_f32_e32 v13, 0x3eedf032, v56
	v_mul_f32_e32 v77, 0xbf7e222b, v50
	v_add_f32_e32 v13, v13, v14
	v_fma_f32 v14, v2, s10, -v77
	v_mul_f32_e32 v76, 0xbe750f2a, v49
	v_add_f32_e32 v14, v0, v14
	v_fma_f32 v15, v3, s6, -v76
	v_mul_f32_e32 v82, 0x3df6dbef, v55
	v_add_f32_e32 v14, v15, v14
	v_mov_b32_e32 v15, v82
	v_mul_f32_e32 v83, 0xbf788fa5, v54
	v_fmac_f32_e32 v15, 0xbf7e222b, v6
	v_mov_b32_e32 v16, v83
	v_add_f32_e32 v15, v1, v15
	v_fmac_f32_e32 v16, 0xbe750f2a, v5
	v_mul_f32_e32 v78, 0x3f6f5d39, v52
	v_add_f32_e32 v15, v16, v15
	v_fma_f32 v16, v4, s5, -v78
	v_mul_f32_e32 v84, 0xbeb58ec6, v57
	v_add_f32_e32 v14, v16, v14
	v_mov_b32_e32 v16, v84
	v_fmac_f32_e32 v16, 0x3f6f5d39, v7
	v_mul_f32_e32 v79, 0x3eedf032, v58
	v_add_f32_e32 v15, v16, v15
	v_fma_f32 v16, v9, s11, -v79
	v_mul_f32_e32 v85, 0x3f62ad3f, v66
	v_add_f32_e32 v14, v16, v14
	v_mov_b32_e32 v16, v85
	;; [unrolled: 7-line block ×4, first 2 shown]
	v_fmac_f32_e32 v16, 0xbf29c268, v56
	v_mul_f32_e32 v89, 0xbf6f5d39, v50
	v_add_f32_e32 v15, v16, v15
	v_fma_f32 v16, v2, s5, -v89
	v_mul_f32_e32 v88, 0x3f29c268, v49
	v_add_f32_e32 v16, v0, v16
	v_fma_f32 v17, v3, s7, -v88
	v_mul_f32_e32 v94, 0xbeb58ec6, v55
	v_add_f32_e32 v16, v17, v16
	v_mov_b32_e32 v17, v94
	v_mul_f32_e32 v95, 0xbf3f9e67, v54
	v_fmac_f32_e32 v17, 0xbf6f5d39, v6
	v_mov_b32_e32 v90, v95
	v_add_f32_e32 v17, v1, v17
	v_fmac_f32_e32 v90, 0x3f29c268, v5
	v_add_f32_e32 v17, v90, v17
	v_mul_f32_e32 v90, 0x3eedf032, v52
	v_fma_f32 v91, v4, s11, -v90
	v_mul_f32_e32 v96, 0x3f62ad3f, v57
	v_add_f32_e32 v16, v91, v16
	v_mov_b32_e32 v91, v96
	v_fmac_f32_e32 v91, 0x3eedf032, v7
	v_add_f32_e32 v17, v91, v17
	v_mul_f32_e32 v91, 0xbf7e222b, v58
	v_fma_f32 v92, v9, s10, -v91
	v_mul_f32_e32 v97, 0x3df6dbef, v66
	v_add_f32_e32 v16, v92, v16
	v_mov_b32_e32 v92, v97
	;; [unrolled: 7-line block ×3, first 2 shown]
	v_fmac_f32_e32 v93, 0x3e750f2a, v51
	v_add_f32_e32 v17, v93, v17
	v_mul_f32_e32 v93, 0x3f52af12, v68
	v_fma_f32 v99, v53, s4, -v93
	v_add_f32_e32 v16, v99, v16
	v_mul_f32_e32 v99, 0x3f116cb1, v72
	v_mov_b32_e32 v100, v99
	v_fmac_f32_e32 v100, 0x3f52af12, v56
	v_add_f32_e32 v17, v100, v17
	s_and_saveexec_b64 s[2:3], s[0:1]
	s_cbranch_execz .LBB0_17
; %bb.16:
	v_mul_f32_e32 v104, 0xbf29c268, v6
	v_mov_b32_e32 v100, v104
	v_mul_f32_e32 v105, 0x3f7e222b, v5
	v_fmac_f32_e32 v100, 0xbf3f9e67, v55
	v_mov_b32_e32 v101, v105
	v_add_f32_e32 v100, v1, v100
	v_fmac_f32_e32 v101, 0x3df6dbef, v54
	v_mul_f32_e32 v106, 0xbf52af12, v7
	v_add_f32_e32 v100, v101, v100
	v_mov_b32_e32 v101, v106
	v_fma_f32 v104, v55, s7, -v104
	v_fmac_f32_e32 v101, 0x3f116cb1, v57
	v_mul_f32_e32 v107, 0x3e750f2a, v47
	v_add_f32_e32 v104, v1, v104
	v_fma_f32 v105, v54, s10, -v105
	v_add_f32_e32 v100, v101, v100
	v_mov_b32_e32 v101, v107
	v_add_f32_e32 v104, v105, v104
	v_fma_f32 v105, v57, s4, -v106
	v_fmac_f32_e32 v101, 0xbf788fa5, v66
	v_mul_f32_e32 v108, 0x3eedf032, v51
	v_add_f32_e32 v104, v105, v104
	v_fma_f32 v105, v66, s6, -v107
	v_add_f32_e32 v100, v101, v100
	v_mov_b32_e32 v101, v108
	v_add_f32_e32 v104, v105, v104
	v_fma_f32 v105, v69, s11, -v108
	v_mul_f32_e32 v108, 0xbf6f5d39, v6
	v_sub_f32_e32 v94, v94, v108
	v_mul_f32_e32 v108, 0x3f29c268, v5
	v_sub_f32_e32 v95, v95, v108
	v_add_f32_e32 v94, v1, v94
	v_add_f32_e32 v94, v95, v94
	v_mul_f32_e32 v95, 0x3eedf032, v7
	v_sub_f32_e32 v95, v96, v95
	v_add_f32_e32 v94, v95, v94
	v_mul_f32_e32 v95, 0xbf7e222b, v47
	v_sub_f32_e32 v95, v97, v95
	v_mul_f32_e32 v97, 0xbeb58ec6, v2
	v_add_f32_e32 v89, v97, v89
	v_mul_f32_e32 v97, 0xbf3f9e67, v3
	v_add_f32_e32 v88, v97, v88
	v_add_f32_e32 v89, v0, v89
	v_fmac_f32_e32 v101, 0x3f62ad3f, v69
	v_mul_f32_e32 v109, 0xbf6f5d39, v56
	v_add_f32_e32 v88, v88, v89
	v_mul_f32_e32 v89, 0x3f62ad3f, v4
	v_add_f32_e32 v100, v101, v100
	v_mov_b32_e32 v101, v109
	v_add_f32_e32 v89, v89, v90
	v_fmac_f32_e32 v101, 0xbeb58ec6, v72
	v_mul_f32_e32 v110, 0xbf29c268, v50
	v_add_f32_e32 v88, v89, v88
	v_mul_f32_e32 v89, 0x3df6dbef, v9
	v_add_f32_e32 v101, v101, v100
	v_fma_f32 v100, v2, s7, -v110
	v_mul_f32_e32 v111, 0x3f7e222b, v49
	v_add_f32_e32 v89, v89, v91
	v_add_f32_e32 v100, v0, v100
	v_fma_f32 v102, v3, s10, -v111
	v_mul_f32_e32 v112, 0xbf52af12, v52
	v_add_f32_e32 v88, v89, v88
	v_mul_f32_e32 v89, 0xbf788fa5, v48
	v_add_f32_e32 v46, v1, v46
	v_add_f32_e32 v100, v102, v100
	v_fma_f32 v102, v4, s4, -v112
	v_mul_f32_e32 v113, 0x3e750f2a, v58
	v_add_f32_e32 v89, v89, v92
	v_add_f32_e32 v27, v46, v27
	;; [unrolled: 1-line block ×3, first 2 shown]
	v_fma_f32 v102, v9, s6, -v113
	v_mul_f32_e32 v114, 0x3eedf032, v65
	v_fmac_f32_e32 v110, 0xbf3f9e67, v2
	v_mul_f32_e32 v96, 0xbf7e222b, v6
	v_add_f32_e32 v94, v95, v94
	v_mul_f32_e32 v95, 0x3e750f2a, v51
	v_add_f32_e32 v88, v89, v88
	;; [unrolled: 2-line block ×3, first 2 shown]
	v_add_f32_e32 v100, v102, v100
	v_fma_f32 v102, v48, s11, -v114
	v_mul_f32_e32 v115, 0xbf6f5d39, v68
	v_add_f32_e32 v104, v105, v104
	v_add_f32_e32 v105, v0, v110
	v_fmac_f32_e32 v111, 0x3df6dbef, v3
	v_mul_f32_e32 v107, 0x3f116cb1, v2
	v_sub_f32_e32 v95, v98, v95
	v_mul_f32_e32 v90, 0xbe750f2a, v5
	v_add_f32_e32 v93, v89, v93
	v_sub_f32_e32 v82, v82, v96
	v_add_f32_e32 v8, v11, v8
	v_add_f32_e32 v100, v102, v100
	v_fma_f32 v102, v53, s5, -v115
	v_mul_f32_e32 v116, 0xbf788fa5, v55
	v_add_f32_e32 v105, v111, v105
	v_fmac_f32_e32 v112, 0x3f116cb1, v4
	v_mul_f32_e32 v98, 0xbeb58ec6, v3
	v_add_f32_e32 v94, v95, v94
	v_mul_f32_e32 v95, 0x3f52af12, v56
	v_add_f32_e32 v88, v93, v88
	v_mul_f32_e32 v93, 0x3f6f5d39, v7
	v_sub_f32_e32 v83, v83, v90
	v_add_f32_e32 v82, v1, v82
	v_add_f32_e32 v60, v107, v60
	;; [unrolled: 1-line block ×4, first 2 shown]
	v_mov_b32_e32 v102, v116
	v_mul_f32_e32 v117, 0x3f62ad3f, v54
	v_add_f32_e32 v105, v112, v105
	v_fmac_f32_e32 v113, 0xbf788fa5, v9
	v_sub_f32_e32 v95, v99, v95
	v_mul_f32_e32 v91, 0xbf788fa5, v4
	v_add_f32_e32 v82, v83, v82
	v_mul_f32_e32 v83, 0x3eedf032, v47
	v_sub_f32_e32 v84, v84, v93
	v_add_f32_e32 v60, v0, v60
	v_add_f32_e32 v59, v98, v59
	;; [unrolled: 1-line block ×3, first 2 shown]
	v_fmac_f32_e32 v102, 0x3e750f2a, v6
	v_mov_b32_e32 v103, v117
	v_add_f32_e32 v105, v113, v105
	v_fmac_f32_e32 v114, 0x3f62ad3f, v48
	v_add_f32_e32 v89, v95, v94
	v_mul_f32_e32 v94, 0xbf3f9e67, v9
	v_add_f32_e32 v82, v84, v82
	v_sub_f32_e32 v83, v85, v83
	v_add_f32_e32 v59, v59, v60
	v_add_f32_e32 v60, v91, v61
	;; [unrolled: 1-line block ×4, first 2 shown]
	v_fmac_f32_e32 v103, 0xbeedf032, v5
	v_mul_f32_e32 v118, 0xbf3f9e67, v57
	v_add_f32_e32 v106, v114, v105
	v_fma_f32 v105, v72, s5, -v109
	v_fmac_f32_e32 v115, 0xbeb58ec6, v53
	v_mul_f32_e32 v93, 0x3df6dbef, v48
	v_add_f32_e32 v82, v83, v82
	v_mul_f32_e32 v83, 0xbf52af12, v51
	v_add_f32_e32 v59, v60, v59
	v_add_f32_e32 v60, v94, v67
	;; [unrolled: 1-line block ×4, first 2 shown]
	v_mov_b32_e32 v103, v118
	v_add_f32_e32 v105, v105, v104
	v_add_f32_e32 v104, v115, v106
	v_mul_f32_e32 v106, 0xbf52af12, v6
	v_sub_f32_e32 v83, v86, v83
	v_mul_f32_e32 v86, 0x3f62ad3f, v53
	v_add_f32_e32 v59, v60, v59
	v_add_f32_e32 v60, v93, v71
	;; [unrolled: 1-line block ×3, first 2 shown]
	v_fmac_f32_e32 v103, 0x3f29c268, v7
	v_mul_f32_e32 v119, 0x3f116cb1, v66
	v_mul_f32_e32 v99, 0xbf6f5d39, v5
	v_sub_f32_e32 v64, v64, v106
	v_add_f32_e32 v59, v60, v59
	v_add_f32_e32 v60, v86, v74
	;; [unrolled: 1-line block ×4, first 2 shown]
	v_mov_b32_e32 v103, v119
	v_mul_f32_e32 v92, 0xbe750f2a, v7
	v_add_f32_e32 v64, v1, v64
	v_sub_f32_e32 v62, v62, v99
	v_add_f32_e32 v61, v60, v59
	v_mul_f32_e32 v59, 0x3f62ad3f, v55
	v_add_f32_e32 v8, v8, v22
	v_fmac_f32_e32 v103, 0xbf52af12, v47
	v_mul_f32_e32 v120, 0xbeb58ec6, v69
	v_mul_f32_e32 v95, 0x3f29c268, v47
	v_add_f32_e32 v62, v62, v64
	v_sub_f32_e32 v63, v63, v92
	v_mov_b32_e32 v55, v59
	v_mul_f32_e32 v60, 0x3f116cb1, v54
	v_add_f32_e32 v11, v8, v26
	v_add_f32_e32 v8, v0, v45
	;; [unrolled: 1-line block ×3, first 2 shown]
	v_mov_b32_e32 v103, v120
	v_mul_f32_e32 v84, 0x3f7e222b, v51
	v_add_f32_e32 v82, v83, v82
	v_mul_f32_e32 v83, 0xbf29c268, v56
	v_add_f32_e32 v62, v63, v62
	v_sub_f32_e32 v63, v70, v95
	v_fmac_f32_e32 v55, 0x3eedf032, v6
	v_mov_b32_e32 v54, v60
	v_add_f32_e32 v8, v8, v44
	v_fmac_f32_e32 v103, 0x3f6f5d39, v51
	v_mul_f32_e32 v121, 0xbe750f2a, v50
	v_sub_f32_e32 v83, v87, v83
	v_mul_f32_e32 v87, 0x3eedf032, v56
	v_add_f32_e32 v62, v63, v62
	v_sub_f32_e32 v63, v73, v84
	v_add_f32_e32 v55, v1, v55
	v_fmac_f32_e32 v54, 0x3f52af12, v5
	v_mul_f32_e32 v57, 0x3df6dbef, v57
	v_add_f32_e32 v8, v8, v43
	v_add_f32_e32 v102, v103, v102
	v_mov_b32_e32 v103, v121
	v_mul_f32_e32 v122, 0x3eedf032, v49
	v_add_f32_e32 v62, v63, v62
	v_sub_f32_e32 v63, v75, v87
	v_add_f32_e32 v54, v54, v55
	v_mov_b32_e32 v55, v57
	v_add_f32_e32 v8, v8, v42
	v_fmac_f32_e32 v103, 0xbf788fa5, v2
	v_mov_b32_e32 v123, v122
	v_add_f32_e32 v62, v63, v62
	v_fmac_f32_e32 v55, 0x3f7e222b, v7
	v_mul_f32_e32 v63, 0xbeb58ec6, v66
	v_add_f32_e32 v8, v8, v41
	v_add_f32_e32 v103, v0, v103
	v_fmac_f32_e32 v123, 0x3f62ad3f, v3
	v_add_f32_e32 v54, v55, v54
	v_mov_b32_e32 v55, v63
	v_add_f32_e32 v8, v8, v40
	v_add_f32_e32 v103, v123, v103
	v_mul_f32_e32 v123, 0xbf29c268, v52
	v_fmac_f32_e32 v55, 0x3f6f5d39, v47
	v_mul_f32_e32 v64, 0xbf3f9e67, v69
	v_add_f32_e32 v8, v8, v39
	v_mov_b32_e32 v124, v123
	v_add_f32_e32 v54, v55, v54
	v_mov_b32_e32 v55, v64
	v_add_f32_e32 v8, v8, v38
	v_fmac_f32_e32 v124, 0xbf3f9e67, v4
	v_fmac_f32_e32 v55, 0x3f29c268, v51
	v_mul_f32_e32 v66, 0xbf788fa5, v72
	v_add_f32_e32 v8, v8, v37
	v_add_f32_e32 v103, v124, v103
	v_mul_f32_e32 v124, 0x3f52af12, v58
	v_add_f32_e32 v54, v55, v54
	v_mov_b32_e32 v55, v66
	v_add_f32_e32 v8, v8, v36
	v_mov_b32_e32 v125, v124
	v_fmac_f32_e32 v55, 0x3e750f2a, v56
	v_mul_f32_e32 v50, 0xbeedf032, v50
	v_add_f32_e32 v8, v8, v35
	v_fmac_f32_e32 v116, 0xbe750f2a, v6
	v_fmac_f32_e32 v125, 0x3f116cb1, v9
	v_add_f32_e32 v55, v55, v54
	v_mov_b32_e32 v54, v50
	v_mul_f32_e32 v49, 0xbf52af12, v49
	v_add_f32_e32 v10, v8, v34
	v_add_f32_e32 v8, v1, v116
	v_fmac_f32_e32 v117, 0x3eedf032, v5
	v_add_f32_e32 v103, v125, v103
	v_mul_f32_e32 v125, 0xbf6f5d39, v65
	v_fmac_f32_e32 v54, 0x3f62ad3f, v2
	v_mov_b32_e32 v67, v49
	v_add_f32_e32 v8, v117, v8
	v_fmac_f32_e32 v118, 0xbf29c268, v7
	v_mov_b32_e32 v126, v125
	v_add_f32_e32 v54, v0, v54
	v_fmac_f32_e32 v67, 0x3f116cb1, v3
	v_mul_f32_e32 v52, 0xbf7e222b, v52
	v_add_f32_e32 v8, v118, v8
	v_fmac_f32_e32 v119, 0x3f52af12, v47
	v_fmac_f32_e32 v126, 0xbeb58ec6, v48
	v_mul_f32_e32 v127, 0x3df6dbef, v72
	v_add_f32_e32 v54, v67, v54
	v_mov_b32_e32 v67, v52
	v_add_f32_e32 v8, v119, v8
	v_fmac_f32_e32 v120, 0xbf6f5d39, v51
	v_add_f32_e32 v126, v126, v103
	v_mov_b32_e32 v103, v127
	v_mul_f32_e32 v108, 0x3df6dbef, v2
	v_fmac_f32_e32 v67, 0x3df6dbef, v4
	v_mul_f32_e32 v58, 0xbf6f5d39, v58
	v_add_f32_e32 v8, v120, v8
	v_fmac_f32_e32 v127, 0x3f7e222b, v56
	v_add_f32_e32 v96, v108, v77
	v_add_f32_e32 v54, v67, v54
	v_mov_b32_e32 v67, v58
	v_add_f32_e32 v19, v127, v8
	v_fma_f32 v8, v2, s6, -v121
	v_fma_f32 v2, v2, s11, -v50
	v_add_f32_e32 v77, v83, v82
	v_add_f32_e32 v82, v0, v96
	v_fmac_f32_e32 v67, 0xbeb58ec6, v9
	v_mul_f32_e32 v65, 0xbf29c268, v65
	v_add_f32_e32 v8, v0, v8
	v_add_f32_e32 v0, v0, v2
	v_fma_f32 v2, v3, s4, -v49
	v_add_f32_e32 v54, v67, v54
	v_mov_b32_e32 v67, v65
	v_add_f32_e32 v0, v2, v0
	v_fma_f32 v2, v4, s10, -v52
	v_fmac_f32_e32 v67, 0xbf3f9e67, v48
	v_add_f32_e32 v0, v2, v0
	v_fma_f32 v2, v9, s5, -v58
	v_mul_f32_e32 v97, 0xbf788fa5, v3
	v_add_f32_e32 v54, v67, v54
	v_mul_f32_e32 v67, 0xbe750f2a, v68
	v_fmac_f32_e32 v59, 0xbeedf032, v6
	v_add_f32_e32 v0, v2, v0
	v_fma_f32 v2, v48, s7, -v65
	v_mul_f32_e32 v109, 0xbeb58ec6, v4
	v_add_f32_e32 v76, v97, v76
	v_fma_f32 v18, v3, s11, -v122
	v_add_f32_e32 v1, v1, v59
	v_fmac_f32_e32 v60, 0xbf52af12, v5
	v_add_f32_e32 v0, v2, v0
	v_fma_f32 v2, v53, s6, -v67
	v_mul_f32_e32 v90, 0x3f62ad3f, v9
	v_add_f32_e32 v76, v76, v82
	v_add_f32_e32 v78, v109, v78
	;; [unrolled: 1-line block ×3, first 2 shown]
	v_fma_f32 v18, v4, s7, -v123
	v_add_f32_e32 v1, v60, v1
	v_fmac_f32_e32 v57, 0xbf7e222b, v7
	v_add_f32_e32 v0, v2, v0
	v_lshrrev_b32_e32 v2, 1, v28
	v_fmac_f32_e32 v103, 0xbf7e222b, v56
	v_mul_f32_e32 v128, 0x3f7e222b, v68
	v_mul_f32_e32 v85, 0x3f116cb1, v48
	v_add_f32_e32 v76, v78, v76
	v_add_f32_e32 v78, v90, v79
	v_mov_b32_e32 v68, v67
	v_add_f32_e32 v8, v18, v8
	v_fma_f32 v18, v9, s4, -v124
	v_add_f32_e32 v1, v57, v1
	v_fmac_f32_e32 v63, 0xbf6f5d39, v47
	v_mul_u32_u24_e32 v2, 26, v2
	v_add_f32_e32 v103, v103, v102
	v_mov_b32_e32 v102, v128
	v_mul_f32_e32 v108, 0xbf3f9e67, v53
	v_add_f32_e32 v76, v78, v76
	v_add_f32_e32 v78, v85, v80
	v_fmac_f32_e32 v68, 0xbf788fa5, v53
	v_add_f32_e32 v8, v18, v8
	v_fma_f32 v18, v48, s5, -v125
	v_add_f32_e32 v1, v63, v1
	v_fmac_f32_e32 v64, 0xbf29c268, v51
	v_or_b32_e32 v2, v2, v33
	v_fmac_f32_e32 v102, 0x3df6dbef, v53
	v_add_f32_e32 v76, v78, v76
	v_add_f32_e32 v78, v108, v81
	;; [unrolled: 1-line block ×4, first 2 shown]
	v_fma_f32 v18, v53, s10, -v128
	v_add_f32_e32 v1, v64, v1
	v_fmac_f32_e32 v66, 0xbe750f2a, v56
	v_lshl_add_u32 v2, v2, 3, 0
	v_add_f32_e32 v102, v102, v126
	v_add_f32_e32 v76, v78, v76
	;; [unrolled: 1-line block ×4, first 2 shown]
	ds_write2_b64 v2, v[10:11], v[54:55] offset1:2
	ds_write2_b64 v2, v[61:62], v[76:77] offset0:4 offset1:6
	ds_write2_b64 v2, v[88:89], v[104:105] offset0:8 offset1:10
	ds_write2_b64 v2, v[102:103], v[18:19] offset0:12 offset1:14
	ds_write2_b64 v2, v[100:101], v[16:17] offset0:16 offset1:18
	ds_write2_b64 v2, v[14:15], v[12:13] offset0:20 offset1:22
	ds_write_b64 v2, v[0:1] offset:192
.LBB0_17:
	s_or_b64 exec, exec, s[2:3]
	v_lshl_add_u32 v33, v28, 3, 0
	v_add_u32_e32 v0, 0x800, v33
	v_add_u32_e32 v4, 0x1200, v33
	;; [unrolled: 1-line block ×3, first 2 shown]
	s_waitcnt lgkmcnt(0)
	s_barrier
	ds_read2_b64 v[0:3], v0 offset0:134 offset1:251
	ds_read2_b64 v[4:7], v4 offset0:48 offset1:204
	v_lshl_add_u32 v26, v30, 3, 0
	ds_read2_b64 v[8:11], v8 offset0:129 offset1:246
	v_lshl_add_u32 v27, v31, 3, 0
	ds_read_b64 v[22:23], v33
	ds_read_b64 v[20:21], v26
	;; [unrolled: 1-line block ×3, first 2 shown]
	v_cmp_gt_u32_e64 s[0:1], 39, v28
	v_lshl_add_u32 v34, v29, 3, 0
	s_and_saveexec_b64 s[2:3], s[0:1]
	s_cbranch_execz .LBB0_19
; %bb.18:
	ds_read_b64 v[14:15], v33 offset:5928
	ds_read_b64 v[16:17], v34
	ds_read_b64 v[12:13], v33 offset:9048
.LBB0_19:
	s_or_b64 exec, exec, s[2:3]
	s_movk_i32 s2, 0x4f
	v_mul_lo_u16_sdwa v35, v28, s2 dst_sel:DWORD dst_unused:UNUSED_PAD src0_sel:BYTE_0 src1_sel:DWORD
	v_mul_lo_u16_sdwa v37, v30, s2 dst_sel:DWORD dst_unused:UNUSED_PAD src0_sel:BYTE_0 src1_sel:DWORD
	v_lshrrev_b16_e32 v55, 11, v35
	v_lshrrev_b16_e32 v57, 11, v37
	v_mul_lo_u16_e32 v35, 26, v55
	v_mul_lo_u16_e32 v37, 26, v57
	v_sub_u16_e32 v56, v28, v35
	v_mov_b32_e32 v35, 4
	v_sub_u16_e32 v58, v30, v37
	v_lshlrev_b32_sdwa v36, v35, v56 dst_sel:DWORD dst_unused:UNUSED_PAD src0_sel:DWORD src1_sel:BYTE_0
	v_lshlrev_b32_sdwa v35, v35, v58 dst_sel:DWORD dst_unused:UNUSED_PAD src0_sel:DWORD src1_sel:BYTE_0
	s_movk_i32 s2, 0x4ec5
	global_load_dwordx4 v[39:42], v36, s[8:9] offset:192
	global_load_dwordx4 v[43:46], v35, s[8:9] offset:192
	v_mul_u32_u24_sdwa v35, v31, s2 dst_sel:DWORD dst_unused:UNUSED_PAD src0_sel:WORD_0 src1_sel:DWORD
	v_lshrrev_b32_e32 v59, 19, v35
	v_mul_lo_u16_e32 v35, 26, v59
	v_sub_u16_e32 v60, v31, v35
	v_mul_u32_u24_sdwa v35, v29, s2 dst_sel:DWORD dst_unused:UNUSED_PAD src0_sel:WORD_0 src1_sel:DWORD
	v_lshlrev_b32_e32 v36, 4, v60
	v_lshrrev_b32_e32 v35, 19, v35
	global_load_dwordx4 v[47:50], v36, s[8:9] offset:192
	v_mul_lo_u16_e32 v36, 26, v35
	v_sub_u16_e32 v36, v29, v36
	v_lshlrev_b32_e32 v37, 4, v36
	global_load_dwordx4 v[51:54], v37, s[8:9] offset:192
	s_waitcnt vmcnt(0) lgkmcnt(0)
	s_barrier
	v_mul_f32_e32 v61, v40, v1
	v_mul_f32_e32 v40, v40, v0
	;; [unrolled: 1-line block ×5, first 2 shown]
	v_fmac_f32_e32 v61, v39, v0
	v_fma_f32 v0, v39, v1, -v40
	v_fmac_f32_e32 v62, v41, v6
	v_fma_f32 v6, v41, v7, -v42
	v_mul_f32_e32 v65, v48, v5
	v_mul_f32_e32 v66, v50, v11
	;; [unrolled: 1-line block ×7, first 2 shown]
	v_fmac_f32_e32 v64, v45, v8
	v_fmac_f32_e32 v65, v47, v4
	v_fmac_f32_e32 v66, v49, v10
	v_fmac_f32_e32 v38, v12, v53
	v_sub_f32_e32 v12, v0, v6
	v_add_f32_e32 v8, v23, v0
	v_add_f32_e32 v0, v0, v6
	v_mul_f32_e32 v48, v48, v4
	v_mul_f32_e32 v50, v50, v10
	v_fma_f32 v3, v43, v3, -v44
	v_fma_f32 v7, v45, v9, -v46
	v_fmac_f32_e32 v23, -0.5, v0
	v_add_f32_e32 v0, v65, v66
	v_mul_f32_e32 v37, v15, v52
	v_mul_f32_e32 v52, v14, v52
	v_fmac_f32_e32 v63, v43, v2
	v_fma_f32 v42, v47, v5, -v48
	v_fma_f32 v11, v49, v11, -v50
	v_add_f32_e32 v39, v3, v7
	v_add_f32_e32 v41, v18, v65
	v_fma_f32 v18, -0.5, v0, v18
	v_fma_f32 v1, v15, v51, -v52
	v_add_f32_e32 v10, v63, v64
	v_add_f32_e32 v15, v21, v3
	v_fmac_f32_e32 v21, -0.5, v39
	v_add_f32_e32 v39, v41, v66
	v_sub_f32_e32 v0, v42, v11
	v_mov_b32_e32 v41, v18
	v_add_f32_e32 v9, v20, v63
	v_sub_f32_e32 v40, v63, v64
	v_fma_f32 v20, -0.5, v10, v20
	v_mov_b32_e32 v10, v21
	v_fmac_f32_e32 v41, 0xbf5db3d7, v0
	v_fmac_f32_e32 v18, 0x3f5db3d7, v0
	v_add_f32_e32 v0, v19, v42
	v_fmac_f32_e32 v21, 0xbf5db3d7, v40
	v_fmac_f32_e32 v10, 0x3f5db3d7, v40
	v_add_f32_e32 v40, v0, v11
	v_add_f32_e32 v0, v42, v11
	;; [unrolled: 1-line block ×3, first 2 shown]
	v_fmac_f32_e32 v19, -0.5, v0
	v_fmac_f32_e32 v37, v14, v51
	v_add_f32_e32 v4, v22, v61
	v_fma_f32 v22, -0.5, v5, v22
	v_sub_f32_e32 v0, v65, v66
	v_mov_b32_e32 v42, v19
	v_sub_f32_e32 v14, v3, v7
	v_add_f32_e32 v3, v4, v62
	v_add_f32_e32 v4, v8, v6
	;; [unrolled: 1-line block ×3, first 2 shown]
	v_mov_b32_e32 v7, v22
	v_fmac_f32_e32 v42, 0x3f5db3d7, v0
	v_fmac_f32_e32 v19, 0xbf5db3d7, v0
	v_add_f32_e32 v0, v37, v38
	v_fma_f32 v2, v13, v53, -v54
	v_add_f32_e32 v5, v9, v64
	v_fmac_f32_e32 v22, 0x3f5db3d7, v12
	v_mov_b32_e32 v9, v20
	v_fmac_f32_e32 v7, 0xbf5db3d7, v12
	v_fma_f32 v12, -0.5, v0, v16
	v_fmac_f32_e32 v20, 0x3f5db3d7, v14
	v_fmac_f32_e32 v9, 0xbf5db3d7, v14
	v_sub_f32_e32 v0, v1, v2
	v_mov_b32_e32 v14, v12
	v_sub_f32_e32 v13, v61, v62
	v_mov_b32_e32 v8, v23
	v_fmac_f32_e32 v14, 0xbf5db3d7, v0
	v_fmac_f32_e32 v12, 0x3f5db3d7, v0
	v_add_f32_e32 v0, v1, v2
	v_fmac_f32_e32 v23, 0xbf5db3d7, v13
	v_fmac_f32_e32 v8, 0x3f5db3d7, v13
	v_fma_f32 v13, -0.5, v0, v17
	v_sub_f32_e32 v0, v37, v38
	v_mov_b32_e32 v15, v13
	v_fmac_f32_e32 v15, 0x3f5db3d7, v0
	v_fmac_f32_e32 v13, 0xbf5db3d7, v0
	v_mov_b32_e32 v0, 3
	v_mul_u32_u24_e32 v11, 0x270, v55
	v_lshlrev_b32_sdwa v43, v0, v56 dst_sel:DWORD dst_unused:UNUSED_PAD src0_sel:DWORD src1_sel:BYTE_0
	v_add3_u32 v11, 0, v11, v43
	ds_write2_b64 v11, v[3:4], v[7:8] offset1:26
	ds_write_b64 v11, v[22:23] offset:416
	v_mul_u32_u24_e32 v3, 0x270, v57
	v_lshlrev_b32_sdwa v4, v0, v58 dst_sel:DWORD dst_unused:UNUSED_PAD src0_sel:DWORD src1_sel:BYTE_0
	v_add3_u32 v3, 0, v3, v4
	ds_write2_b64 v3, v[5:6], v[9:10] offset1:26
	ds_write_b64 v3, v[20:21] offset:416
	v_mul_u32_u24_e32 v3, 0x270, v59
	v_lshlrev_b32_e32 v4, 3, v60
	v_add3_u32 v3, 0, v3, v4
	ds_write2_b64 v3, v[39:40], v[41:42] offset1:26
	ds_write_b64 v3, v[18:19] offset:416
	s_and_saveexec_b64 s[2:3], s[0:1]
	s_cbranch_execz .LBB0_21
; %bb.20:
	v_add_f32_e32 v1, v17, v1
	v_mul_lo_u16_e32 v3, 0x4e, v35
	v_add_f32_e32 v2, v1, v2
	v_add_f32_e32 v1, v16, v37
	v_lshlrev_b32_e32 v4, 3, v36
	v_lshlrev_b32_e32 v3, 3, v3
	v_add_f32_e32 v1, v1, v38
	v_add3_u32 v3, 0, v4, v3
	ds_write2_b64 v3, v[1:2], v[14:15] offset1:26
	ds_write_b64 v3, v[12:13] offset:416
.LBB0_21:
	s_or_b64 exec, exec, s[2:3]
	s_movk_i32 s2, 0x4e
	v_add_u32_e32 v1, 0xffffffb2, v28
	v_cmp_gt_u32_e64 s[2:3], s2, v28
	v_cndmask_b32_e64 v11, v1, v28, s[2:3]
	v_lshlrev_b32_e32 v1, 2, v11
	v_mov_b32_e32 v2, 0
	v_lshlrev_b64 v[1:2], 3, v[1:2]
	v_mov_b32_e32 v3, s9
	v_add_co_u32_e64 v9, s[2:3], s8, v1
	v_addc_co_u32_e64 v10, s[2:3], v3, v2, s[2:3]
	s_waitcnt lgkmcnt(0)
	s_barrier
	global_load_dwordx4 v[1:4], v[9:10], off offset:608
	global_load_dwordx4 v[5:8], v[9:10], off offset:624
	v_lshrrev_b16_e32 v9, 1, v30
	v_and_b32_e32 v9, 0x7f, v9
	v_mul_lo_u16_e32 v9, 0xd3, v9
	v_lshrrev_b16_e32 v53, 13, v9
	v_mul_lo_u16_e32 v9, 0x4e, v53
	v_sub_u16_e32 v54, v30, v9
	v_mov_b32_e32 v9, 5
	v_lshlrev_b32_sdwa v9, v9, v54 dst_sel:DWORD dst_unused:UNUSED_PAD src0_sel:DWORD src1_sel:BYTE_0
	global_load_dwordx4 v[16:19], v9, s[8:9] offset:608
	global_load_dwordx4 v[20:23], v9, s[8:9] offset:624
	v_lshl_add_u32 v32, v32, 3, 0
	v_add_u32_e32 v35, 0x1400, v33
	v_add_u32_e32 v39, 0x1c00, v33
	;; [unrolled: 1-line block ×3, first 2 shown]
	ds_read_b64 v[9:10], v33
	ds_read_b64 v[47:48], v32
	;; [unrolled: 1-line block ×3, first 2 shown]
	ds_read2_b64 v[35:38], v35 offset0:62 offset1:179
	ds_read2_b64 v[39:42], v39 offset0:40 offset1:157
	ds_read_b64 v[51:52], v26
	ds_read2_b64 v[43:46], v43 offset0:15 offset1:249
	s_movk_i32 s2, 0x4d
	v_cmp_lt_u32_e64 s[2:3], s2, v28
	v_lshlrev_b32_e32 v11, 3, v11
	s_waitcnt vmcnt(0) lgkmcnt(0)
	s_barrier
	v_lshlrev_b32_sdwa v0, v0, v54 dst_sel:DWORD dst_unused:UNUSED_PAD src0_sel:DWORD src1_sel:BYTE_0
	v_mul_f32_e32 v32, v2, v50
	v_mul_f32_e32 v2, v2, v49
	;; [unrolled: 1-line block ×7, first 2 shown]
	v_fmac_f32_e32 v32, v1, v49
	v_fma_f32 v49, v1, v50, -v2
	v_fmac_f32_e32 v55, v3, v47
	v_fmac_f32_e32 v56, v5, v35
	v_fmac_f32_e32 v57, v7, v39
	v_mul_f32_e32 v39, v17, v44
	v_mul_f32_e32 v1, v17, v43
	v_mul_f32_e32 v2, v45, v19
	v_mul_f32_e32 v6, v6, v35
	v_fma_f32 v47, v3, v48, -v4
	v_mul_f32_e32 v48, v38, v21
	v_mul_f32_e32 v3, v37, v21
	v_fmac_f32_e32 v39, v16, v43
	v_fma_f32 v43, v16, v44, -v1
	v_fma_f32 v44, v46, v18, -v2
	v_add_f32_e32 v1, v9, v32
	v_add_f32_e32 v2, v55, v56
	v_fma_f32 v35, v5, v36, -v6
	v_fma_f32 v36, v7, v40, -v8
	v_mul_f32_e32 v4, v41, v23
	v_fmac_f32_e32 v48, v37, v20
	v_fma_f32 v37, v38, v20, -v3
	v_sub_f32_e32 v3, v32, v55
	v_sub_f32_e32 v5, v57, v56
	v_add_f32_e32 v16, v1, v55
	v_fma_f32 v1, -0.5, v2, v9
	v_fma_f32 v38, v42, v22, -v4
	v_sub_f32_e32 v4, v49, v36
	v_add_f32_e32 v7, v32, v57
	v_add_f32_e32 v2, v3, v5
	v_mov_b32_e32 v3, v1
	v_sub_f32_e32 v6, v47, v35
	v_fma_f32 v9, -0.5, v7, v9
	v_fmac_f32_e32 v1, 0x3f737871, v4
	v_fmac_f32_e32 v3, 0xbf737871, v4
	v_mov_b32_e32 v5, v9
	v_fmac_f32_e32 v1, 0x3f167918, v6
	v_fmac_f32_e32 v3, 0xbf167918, v6
	v_sub_f32_e32 v8, v55, v32
	v_fmac_f32_e32 v5, 0x3f737871, v6
	v_fmac_f32_e32 v1, 0x3e9e377a, v2
	;; [unrolled: 1-line block ×3, first 2 shown]
	v_sub_f32_e32 v2, v56, v57
	v_fmac_f32_e32 v9, 0xbf737871, v6
	v_fmac_f32_e32 v5, 0xbf167918, v4
	v_add_f32_e32 v2, v8, v2
	v_fmac_f32_e32 v9, 0x3f167918, v4
	v_fmac_f32_e32 v5, 0x3e9e377a, v2
	;; [unrolled: 1-line block ×3, first 2 shown]
	v_add_f32_e32 v2, v10, v49
	v_add_f32_e32 v2, v2, v47
	;; [unrolled: 1-line block ×5, first 2 shown]
	v_fma_f32 v2, -0.5, v2, v10
	v_mul_f32_e32 v40, v46, v19
	v_add_f32_e32 v7, v16, v56
	v_sub_f32_e32 v16, v32, v57
	v_mov_b32_e32 v4, v2
	v_fmac_f32_e32 v40, v45, v18
	v_fmac_f32_e32 v4, 0x3f737871, v16
	v_sub_f32_e32 v17, v55, v56
	v_sub_f32_e32 v6, v49, v47
	;; [unrolled: 1-line block ×3, first 2 shown]
	v_fmac_f32_e32 v2, 0xbf737871, v16
	v_fmac_f32_e32 v4, 0x3f167918, v17
	v_add_f32_e32 v6, v6, v18
	v_fmac_f32_e32 v2, 0xbf167918, v17
	v_fmac_f32_e32 v4, 0x3e9e377a, v6
	;; [unrolled: 1-line block ×3, first 2 shown]
	v_add_f32_e32 v6, v49, v36
	v_fmac_f32_e32 v10, -0.5, v6
	v_mov_b32_e32 v6, v10
	v_fmac_f32_e32 v6, 0xbf737871, v17
	v_fmac_f32_e32 v10, 0x3f737871, v17
	;; [unrolled: 1-line block ×4, first 2 shown]
	v_add_f32_e32 v16, v51, v39
	v_mul_f32_e32 v21, v42, v23
	v_sub_f32_e32 v18, v47, v49
	v_sub_f32_e32 v19, v35, v36
	v_add_f32_e32 v16, v16, v40
	v_fmac_f32_e32 v21, v41, v22
	v_add_f32_e32 v18, v18, v19
	v_add_f32_e32 v16, v16, v48
	v_fmac_f32_e32 v6, 0x3e9e377a, v18
	v_fmac_f32_e32 v10, 0x3e9e377a, v18
	v_add_f32_e32 v18, v16, v21
	v_add_f32_e32 v16, v40, v48
	v_fma_f32 v16, -0.5, v16, v51
	v_sub_f32_e32 v17, v43, v38
	v_mov_b32_e32 v20, v16
	v_fmac_f32_e32 v20, 0xbf737871, v17
	v_sub_f32_e32 v19, v44, v37
	v_sub_f32_e32 v22, v39, v40
	;; [unrolled: 1-line block ×3, first 2 shown]
	v_fmac_f32_e32 v16, 0x3f737871, v17
	v_fmac_f32_e32 v20, 0xbf167918, v19
	v_add_f32_e32 v22, v22, v23
	v_fmac_f32_e32 v16, 0x3f167918, v19
	v_fmac_f32_e32 v20, 0x3e9e377a, v22
	;; [unrolled: 1-line block ×3, first 2 shown]
	v_add_f32_e32 v22, v39, v21
	v_fma_f32 v51, -0.5, v22, v51
	v_mov_b32_e32 v22, v51
	v_fmac_f32_e32 v22, 0x3f737871, v19
	v_fmac_f32_e32 v51, 0xbf737871, v19
	;; [unrolled: 1-line block ×4, first 2 shown]
	v_add_f32_e32 v17, v52, v43
	v_add_f32_e32 v17, v17, v44
	;; [unrolled: 1-line block ×5, first 2 shown]
	v_sub_f32_e32 v23, v40, v39
	v_sub_f32_e32 v32, v48, v21
	v_fma_f32 v17, -0.5, v17, v52
	v_add_f32_e32 v23, v23, v32
	v_sub_f32_e32 v32, v39, v21
	v_mov_b32_e32 v21, v17
	v_fmac_f32_e32 v22, 0x3e9e377a, v23
	v_fmac_f32_e32 v51, 0x3e9e377a, v23
	;; [unrolled: 1-line block ×3, first 2 shown]
	v_sub_f32_e32 v35, v40, v48
	v_sub_f32_e32 v23, v43, v44
	;; [unrolled: 1-line block ×3, first 2 shown]
	v_fmac_f32_e32 v17, 0xbf737871, v32
	v_fmac_f32_e32 v21, 0x3f167918, v35
	v_add_f32_e32 v23, v23, v36
	v_fmac_f32_e32 v17, 0xbf167918, v35
	v_fmac_f32_e32 v21, 0x3e9e377a, v23
	v_fmac_f32_e32 v17, 0x3e9e377a, v23
	v_add_f32_e32 v23, v43, v38
	v_fmac_f32_e32 v52, -0.5, v23
	v_mov_b32_e32 v23, v52
	v_fmac_f32_e32 v23, 0xbf737871, v35
	v_fmac_f32_e32 v52, 0x3f737871, v35
	v_fmac_f32_e32 v23, 0x3f167918, v32
	v_fmac_f32_e32 v52, 0xbf167918, v32
	v_mov_b32_e32 v32, 0xc30
	v_cndmask_b32_e64 v32, 0, v32, s[2:3]
	v_add_f32_e32 v7, v7, v57
	v_add3_u32 v11, 0, v32, v11
	v_sub_f32_e32 v36, v44, v43
	v_sub_f32_e32 v37, v37, v38
	ds_write2_b64 v11, v[7:8], v[3:4] offset1:78
	ds_write2_b64 v11, v[5:6], v[9:10] offset0:156 offset1:234
	ds_write_b64 v11, v[1:2] offset:2496
	v_mul_u32_u24_e32 v1, 0xc30, v53
	v_add_f32_e32 v36, v36, v37
	v_add3_u32 v0, 0, v1, v0
	v_fmac_f32_e32 v23, 0x3e9e377a, v36
	v_fmac_f32_e32 v52, 0x3e9e377a, v36
	ds_write2_b64 v0, v[18:19], v[20:21] offset1:78
	ds_write2_b64 v0, v[22:23], v[51:52] offset0:156 offset1:234
	ds_write_b64 v0, v[16:17] offset:2496
	v_add_u32_e32 v0, 0x800, v33
	v_add_u32_e32 v4, 0x1200, v33
	v_add_u32_e32 v8, 0x1800, v33
	s_waitcnt lgkmcnt(0)
	s_barrier
	ds_read2_b64 v[0:3], v0 offset0:134 offset1:251
	ds_read2_b64 v[4:7], v4 offset0:48 offset1:204
	;; [unrolled: 1-line block ×3, first 2 shown]
	ds_read_b64 v[20:21], v33
	ds_read_b64 v[22:23], v26
	;; [unrolled: 1-line block ×3, first 2 shown]
	s_and_saveexec_b64 s[2:3], s[0:1]
	s_cbranch_execz .LBB0_23
; %bb.22:
	ds_read_b64 v[14:15], v33 offset:5928
	ds_read_b64 v[16:17], v34
	ds_read_b64 v[12:13], v33 offset:9048
.LBB0_23:
	s_or_b64 exec, exec, s[2:3]
	s_and_saveexec_b64 s[2:3], vcc
	s_cbranch_execz .LBB0_26
; %bb.24:
	v_lshlrev_b32_e32 v18, 1, v31
	v_mov_b32_e32 v19, 0
	v_lshlrev_b32_e32 v34, 1, v30
	v_lshlrev_b64 v[30:31], 3, v[18:19]
	v_mov_b32_e32 v35, v19
	v_mov_b32_e32 v18, s9
	v_add_co_u32_e32 v30, vcc, s8, v30
	v_lshlrev_b64 v[34:35], 3, v[34:35]
	v_lshlrev_b32_e32 v38, 1, v28
	v_addc_co_u32_e32 v31, vcc, v18, v31, vcc
	v_mov_b32_e32 v39, v19
	v_add_co_u32_e32 v34, vcc, s8, v34
	v_lshlrev_b64 v[38:39], 3, v[38:39]
	v_addc_co_u32_e32 v35, vcc, v18, v35, vcc
	global_load_dwordx4 v[30:33], v[30:31], off offset:3104
	v_add_co_u32_e32 v38, vcc, s8, v38
	global_load_dwordx4 v[34:37], v[34:35], off offset:3104
	v_addc_co_u32_e32 v39, vcc, v18, v39, vcc
	global_load_dwordx4 v[38:41], v[38:39], off offset:3104
	s_movk_i32 s4, 0x30c
	s_waitcnt vmcnt(2) lgkmcnt(4)
	v_mul_f32_e32 v18, v31, v4
	s_waitcnt lgkmcnt(3)
	v_mul_f32_e32 v42, v33, v10
	v_mul_f32_e32 v31, v31, v5
	;; [unrolled: 1-line block ×3, first 2 shown]
	v_fma_f32 v5, v30, v5, -v18
	v_fmac_f32_e32 v31, v30, v4
	v_fmac_f32_e32 v33, v32, v10
	s_waitcnt vmcnt(1)
	v_mul_f32_e32 v4, v35, v2
	v_mul_f32_e32 v10, v37, v8
	;; [unrolled: 1-line block ×4, first 2 shown]
	v_fma_f32 v11, v32, v11, -v42
	s_waitcnt vmcnt(0)
	v_mul_f32_e32 v32, v39, v0
	v_mul_f32_e32 v35, v41, v6
	;; [unrolled: 1-line block ×4, first 2 shown]
	v_fma_f32 v45, v34, v3, -v4
	v_fma_f32 v10, v36, v9, -v10
	v_fmac_f32_e32 v18, v34, v2
	v_fmac_f32_e32 v30, v36, v8
	v_add_f32_e32 v41, v5, v11
	v_add_f32_e32 v43, v31, v33
	v_fma_f32 v1, v38, v1, -v32
	v_fma_f32 v34, v40, v7, -v35
	v_fmac_f32_e32 v37, v38, v0
	v_fmac_f32_e32 v39, v40, v6
	v_add_f32_e32 v0, v45, v10
	v_add_f32_e32 v8, v18, v30
	v_sub_f32_e32 v42, v31, v33
	v_sub_f32_e32 v44, v5, v11
	s_waitcnt lgkmcnt(0)
	v_add_f32_e32 v5, v27, v5
	v_add_f32_e32 v31, v26, v31
	v_fma_f32 v3, -0.5, v41, v27
	v_fma_f32 v2, -0.5, v43, v26
	v_add_f32_e32 v26, v1, v34
	v_add_f32_e32 v27, v37, v39
	v_fma_f32 v9, -0.5, v0, v23
	v_fma_f32 v8, -0.5, v8, v22
	v_add_f32_e32 v5, v5, v11
	v_add_f32_e32 v4, v31, v33
	v_sub_f32_e32 v32, v18, v30
	v_sub_f32_e32 v33, v45, v10
	v_add_f32_e32 v11, v23, v45
	v_add_f32_e32 v18, v22, v18
	v_fma_f32 v23, -0.5, v26, v21
	v_fma_f32 v22, -0.5, v27, v20
	v_mov_b32_e32 v27, v9
	v_mov_b32_e32 v26, v8
	v_fmac_f32_e32 v9, 0x3f5db3d7, v32
	v_fmac_f32_e32 v8, 0xbf5db3d7, v33
	;; [unrolled: 1-line block ×4, first 2 shown]
	v_mad_u64_u32 v[32:33], s[2:3], s12, v28, 0
	v_sub_f32_e32 v36, v1, v34
	v_add_f32_e32 v11, v11, v10
	v_mov_b32_e32 v0, v33
	v_add_f32_e32 v10, v18, v30
	v_add_f32_e32 v18, v21, v1
	v_mad_u64_u32 v[0:1], s[2:3], s13, v28, v[0:1]
	v_add_f32_e32 v1, v20, v37
	v_add_f32_e32 v21, v18, v34
	;; [unrolled: 1-line block ×3, first 2 shown]
	v_mov_b32_e32 v33, v0
	v_mov_b32_e32 v1, s15
	v_add_co_u32_e32 v0, vcc, s14, v24
	v_add_u32_e32 v34, 0x186, v28
	v_addc_co_u32_e32 v1, vcc, v1, v25, vcc
	v_lshlrev_b64 v[24:25], 3, v[32:33]
	v_mad_u64_u32 v[32:33], s[2:3], s12, v34, 0
	v_mov_b32_e32 v30, v22
	v_sub_f32_e32 v35, v37, v39
	v_mov_b32_e32 v18, v33
	v_mov_b32_e32 v31, v23
	v_fmac_f32_e32 v30, 0x3f5db3d7, v36
	v_fmac_f32_e32 v22, 0xbf5db3d7, v36
	v_mad_u64_u32 v[33:34], s[2:3], s13, v34, v[18:19]
	v_add_u32_e32 v36, 0x30c, v28
	v_fmac_f32_e32 v31, 0xbf5db3d7, v35
	v_fmac_f32_e32 v23, 0x3f5db3d7, v35
	v_mad_u64_u32 v[34:35], s[2:3], s12, v36, 0
	v_add_co_u32_e32 v24, vcc, v0, v24
	v_addc_co_u32_e32 v25, vcc, v1, v25, vcc
	v_mov_b32_e32 v18, v35
	global_store_dwordx2 v[24:25], v[20:21], off
	v_mad_u64_u32 v[24:25], s[2:3], s13, v36, v[18:19]
	v_lshlrev_b64 v[20:21], 3, v[32:33]
	v_add_u32_e32 v32, 0x1fb, v28
	v_add_co_u32_e32 v20, vcc, v0, v20
	v_addc_co_u32_e32 v21, vcc, v1, v21, vcc
	v_mov_b32_e32 v35, v24
	v_add_u32_e32 v24, 0x75, v28
	global_store_dwordx2 v[20:21], v[22:23], off
	v_mad_u64_u32 v[22:23], s[2:3], s12, v24, 0
	v_lshlrev_b64 v[20:21], 3, v[34:35]
	v_mov_b32_e32 v7, v3
	v_mov_b32_e32 v18, v23
	v_mad_u64_u32 v[23:24], s[2:3], s13, v24, v[18:19]
	v_mad_u64_u32 v[24:25], s[2:3], s12, v32, 0
	v_add_co_u32_e32 v20, vcc, v0, v20
	v_addc_co_u32_e32 v21, vcc, v1, v21, vcc
	v_mov_b32_e32 v18, v25
	global_store_dwordx2 v[20:21], v[30:31], off
	v_lshlrev_b64 v[20:21], 3, v[22:23]
	v_mad_u64_u32 v[22:23], s[2:3], s13, v32, v[18:19]
	v_add_co_u32_e32 v20, vcc, v0, v20
	v_addc_co_u32_e32 v21, vcc, v1, v21, vcc
	v_mov_b32_e32 v25, v22
	v_add_u32_e32 v22, 0x381, v28
	global_store_dwordx2 v[20:21], v[10:11], off
	v_mad_u64_u32 v[20:21], s[2:3], s12, v22, 0
	v_add_u32_e32 v23, 0xea, v28
	v_lshrrev_b32_e32 v18, 1, v23
	s_mov_b32 s2, 0xa80a80a9
	v_lshlrev_b64 v[10:11], 3, v[24:25]
	v_mul_hi_u32 v24, v18, s2
	v_mov_b32_e32 v18, v21
	v_mad_u64_u32 v[21:22], s[2:3], s13, v22, v[18:19]
	v_lshrrev_b32_e32 v18, 7, v24
	v_mad_u32_u24 v18, v18, s4, v23
	v_mad_u64_u32 v[22:23], s[2:3], s12, v18, 0
	v_add_co_u32_e32 v10, vcc, v0, v10
	v_addc_co_u32_e32 v11, vcc, v1, v11, vcc
	global_store_dwordx2 v[10:11], v[8:9], off
	v_mov_b32_e32 v10, v23
	v_mad_u64_u32 v[10:11], s[2:3], s13, v18, v[10:11]
	v_lshlrev_b64 v[8:9], 3, v[20:21]
	v_add_u32_e32 v20, 0x186, v18
	v_mov_b32_e32 v23, v10
	v_mad_u64_u32 v[10:11], s[2:3], s12, v20, 0
	v_add_co_u32_e32 v8, vcc, v0, v8
	v_addc_co_u32_e32 v9, vcc, v1, v9, vcc
	v_mad_u64_u32 v[20:21], s[2:3], s13, v20, v[11:12]
	v_add_u32_e32 v18, 0x30c, v18
	global_store_dwordx2 v[8:9], v[26:27], off
	v_lshlrev_b64 v[8:9], 3, v[22:23]
	v_mad_u64_u32 v[21:22], s[2:3], s12, v18, 0
	v_add_co_u32_e32 v8, vcc, v0, v8
	v_addc_co_u32_e32 v9, vcc, v1, v9, vcc
	global_store_dwordx2 v[8:9], v[4:5], off
	v_mov_b32_e32 v8, v22
	v_mov_b32_e32 v11, v20
	v_mad_u64_u32 v[8:9], s[2:3], s13, v18, v[8:9]
	v_lshlrev_b64 v[4:5], 3, v[10:11]
	v_mov_b32_e32 v6, v2
	v_add_co_u32_e32 v4, vcc, v0, v4
	v_fmac_f32_e32 v3, 0x3f5db3d7, v42
	v_fmac_f32_e32 v2, 0xbf5db3d7, v44
	v_addc_co_u32_e32 v5, vcc, v1, v5, vcc
	v_mov_b32_e32 v22, v8
	global_store_dwordx2 v[4:5], v[2:3], off
	v_lshlrev_b64 v[2:3], 3, v[21:22]
	v_fmac_f32_e32 v7, 0xbf5db3d7, v42
	v_add_co_u32_e32 v2, vcc, v0, v2
	v_fmac_f32_e32 v6, 0x3f5db3d7, v44
	v_addc_co_u32_e32 v3, vcc, v1, v3, vcc
	global_store_dwordx2 v[2:3], v[6:7], off
	s_and_b64 exec, exec, s[0:1]
	s_cbranch_execz .LBB0_26
; %bb.25:
	v_subrev_u32_e32 v2, 39, v28
	v_cndmask_b32_e64 v2, v2, v29, s[0:1]
	v_lshlrev_b32_e32 v18, 1, v2
	v_lshlrev_b64 v[2:3], 3, v[18:19]
	v_mov_b32_e32 v4, s9
	v_add_co_u32_e32 v2, vcc, s8, v2
	v_addc_co_u32_e32 v3, vcc, v4, v3, vcc
	global_load_dwordx4 v[2:5], v[2:3], off offset:3104
	v_add_u32_e32 v18, 0x15f, v28
	v_add_u32_e32 v20, 0x2e5, v28
	v_mad_u64_u32 v[6:7], s[0:1], s12, v18, 0
	v_mad_u64_u32 v[8:9], s[0:1], s12, v20, 0
	v_add_u32_e32 v21, 0x46b, v28
	v_mad_u64_u32 v[10:11], s[0:1], s12, v21, 0
	v_mad_u64_u32 v[18:19], s[0:1], s13, v18, v[7:8]
	;; [unrolled: 1-line block ×4, first 2 shown]
	v_mov_b32_e32 v7, v18
	v_lshlrev_b64 v[6:7], 3, v[6:7]
	v_mov_b32_e32 v9, v19
	v_lshlrev_b64 v[8:9], 3, v[8:9]
	v_add_co_u32_e32 v6, vcc, v0, v6
	v_mov_b32_e32 v11, v20
	v_addc_co_u32_e32 v7, vcc, v1, v7, vcc
	v_lshlrev_b64 v[10:11], 3, v[10:11]
	v_add_co_u32_e32 v8, vcc, v0, v8
	v_addc_co_u32_e32 v9, vcc, v1, v9, vcc
	v_add_co_u32_e32 v0, vcc, v0, v10
	v_addc_co_u32_e32 v1, vcc, v1, v11, vcc
	s_waitcnt vmcnt(0)
	v_mul_f32_e32 v10, v15, v3
	v_mul_f32_e32 v3, v14, v3
	;; [unrolled: 1-line block ×4, first 2 shown]
	v_fmac_f32_e32 v10, v14, v2
	v_fma_f32 v2, v15, v2, -v3
	v_fmac_f32_e32 v11, v12, v4
	v_fma_f32 v3, v13, v4, -v5
	v_add_f32_e32 v5, v10, v11
	v_add_f32_e32 v14, v2, v3
	;; [unrolled: 1-line block ×4, first 2 shown]
	v_fmac_f32_e32 v16, -0.5, v5
	v_fmac_f32_e32 v17, -0.5, v14
	v_sub_f32_e32 v12, v2, v3
	v_sub_f32_e32 v10, v10, v11
	v_add_f32_e32 v2, v4, v11
	v_mov_b32_e32 v4, v16
	v_mov_b32_e32 v5, v17
	v_add_f32_e32 v3, v13, v3
	v_fmac_f32_e32 v4, 0xbf5db3d7, v12
	v_fmac_f32_e32 v5, 0x3f5db3d7, v10
	;; [unrolled: 1-line block ×4, first 2 shown]
	global_store_dwordx2 v[6:7], v[2:3], off
	global_store_dwordx2 v[8:9], v[4:5], off
	;; [unrolled: 1-line block ×3, first 2 shown]
.LBB0_26:
	s_endpgm
	.section	.rodata,"a",@progbits
	.p2align	6, 0x0
	.amdhsa_kernel fft_rtc_back_len1170_factors_2_13_3_5_3_wgs_117_tpt_117_sp_ip_CI_sbrr_dirReg
		.amdhsa_group_segment_fixed_size 0
		.amdhsa_private_segment_fixed_size 0
		.amdhsa_kernarg_size 88
		.amdhsa_user_sgpr_count 6
		.amdhsa_user_sgpr_private_segment_buffer 1
		.amdhsa_user_sgpr_dispatch_ptr 0
		.amdhsa_user_sgpr_queue_ptr 0
		.amdhsa_user_sgpr_kernarg_segment_ptr 1
		.amdhsa_user_sgpr_dispatch_id 0
		.amdhsa_user_sgpr_flat_scratch_init 0
		.amdhsa_user_sgpr_private_segment_size 0
		.amdhsa_uses_dynamic_stack 0
		.amdhsa_system_sgpr_private_segment_wavefront_offset 0
		.amdhsa_system_sgpr_workgroup_id_x 1
		.amdhsa_system_sgpr_workgroup_id_y 0
		.amdhsa_system_sgpr_workgroup_id_z 0
		.amdhsa_system_sgpr_workgroup_info 0
		.amdhsa_system_vgpr_workitem_id 0
		.amdhsa_next_free_vgpr 129
		.amdhsa_next_free_sgpr 24
		.amdhsa_reserve_vcc 1
		.amdhsa_reserve_flat_scratch 0
		.amdhsa_float_round_mode_32 0
		.amdhsa_float_round_mode_16_64 0
		.amdhsa_float_denorm_mode_32 3
		.amdhsa_float_denorm_mode_16_64 3
		.amdhsa_dx10_clamp 1
		.amdhsa_ieee_mode 1
		.amdhsa_fp16_overflow 0
		.amdhsa_exception_fp_ieee_invalid_op 0
		.amdhsa_exception_fp_denorm_src 0
		.amdhsa_exception_fp_ieee_div_zero 0
		.amdhsa_exception_fp_ieee_overflow 0
		.amdhsa_exception_fp_ieee_underflow 0
		.amdhsa_exception_fp_ieee_inexact 0
		.amdhsa_exception_int_div_zero 0
	.end_amdhsa_kernel
	.text
.Lfunc_end0:
	.size	fft_rtc_back_len1170_factors_2_13_3_5_3_wgs_117_tpt_117_sp_ip_CI_sbrr_dirReg, .Lfunc_end0-fft_rtc_back_len1170_factors_2_13_3_5_3_wgs_117_tpt_117_sp_ip_CI_sbrr_dirReg
                                        ; -- End function
	.section	.AMDGPU.csdata,"",@progbits
; Kernel info:
; codeLenInByte = 9180
; NumSgprs: 28
; NumVgprs: 129
; ScratchSize: 0
; MemoryBound: 0
; FloatMode: 240
; IeeeMode: 1
; LDSByteSize: 0 bytes/workgroup (compile time only)
; SGPRBlocks: 3
; VGPRBlocks: 32
; NumSGPRsForWavesPerEU: 28
; NumVGPRsForWavesPerEU: 129
; Occupancy: 1
; WaveLimiterHint : 1
; COMPUTE_PGM_RSRC2:SCRATCH_EN: 0
; COMPUTE_PGM_RSRC2:USER_SGPR: 6
; COMPUTE_PGM_RSRC2:TRAP_HANDLER: 0
; COMPUTE_PGM_RSRC2:TGID_X_EN: 1
; COMPUTE_PGM_RSRC2:TGID_Y_EN: 0
; COMPUTE_PGM_RSRC2:TGID_Z_EN: 0
; COMPUTE_PGM_RSRC2:TIDIG_COMP_CNT: 0
	.type	__hip_cuid_4bacc2a0aef0d3c3,@object ; @__hip_cuid_4bacc2a0aef0d3c3
	.section	.bss,"aw",@nobits
	.globl	__hip_cuid_4bacc2a0aef0d3c3
__hip_cuid_4bacc2a0aef0d3c3:
	.byte	0                               ; 0x0
	.size	__hip_cuid_4bacc2a0aef0d3c3, 1

	.ident	"AMD clang version 19.0.0git (https://github.com/RadeonOpenCompute/llvm-project roc-6.4.0 25133 c7fe45cf4b819c5991fe208aaa96edf142730f1d)"
	.section	".note.GNU-stack","",@progbits
	.addrsig
	.addrsig_sym __hip_cuid_4bacc2a0aef0d3c3
	.amdgpu_metadata
---
amdhsa.kernels:
  - .args:
      - .actual_access:  read_only
        .address_space:  global
        .offset:         0
        .size:           8
        .value_kind:     global_buffer
      - .offset:         8
        .size:           8
        .value_kind:     by_value
      - .actual_access:  read_only
        .address_space:  global
        .offset:         16
        .size:           8
        .value_kind:     global_buffer
      - .actual_access:  read_only
        .address_space:  global
        .offset:         24
        .size:           8
        .value_kind:     global_buffer
      - .offset:         32
        .size:           8
        .value_kind:     by_value
      - .actual_access:  read_only
        .address_space:  global
        .offset:         40
        .size:           8
        .value_kind:     global_buffer
      - .actual_access:  read_only
        .address_space:  global
        .offset:         48
        .size:           8
        .value_kind:     global_buffer
      - .offset:         56
        .size:           4
        .value_kind:     by_value
      - .actual_access:  read_only
        .address_space:  global
        .offset:         64
        .size:           8
        .value_kind:     global_buffer
      - .actual_access:  read_only
        .address_space:  global
        .offset:         72
        .size:           8
        .value_kind:     global_buffer
      - .address_space:  global
        .offset:         80
        .size:           8
        .value_kind:     global_buffer
    .group_segment_fixed_size: 0
    .kernarg_segment_align: 8
    .kernarg_segment_size: 88
    .language:       OpenCL C
    .language_version:
      - 2
      - 0
    .max_flat_workgroup_size: 117
    .name:           fft_rtc_back_len1170_factors_2_13_3_5_3_wgs_117_tpt_117_sp_ip_CI_sbrr_dirReg
    .private_segment_fixed_size: 0
    .sgpr_count:     28
    .sgpr_spill_count: 0
    .symbol:         fft_rtc_back_len1170_factors_2_13_3_5_3_wgs_117_tpt_117_sp_ip_CI_sbrr_dirReg.kd
    .uniform_work_group_size: 1
    .uses_dynamic_stack: false
    .vgpr_count:     129
    .vgpr_spill_count: 0
    .wavefront_size: 64
amdhsa.target:   amdgcn-amd-amdhsa--gfx906
amdhsa.version:
  - 1
  - 2
...

	.end_amdgpu_metadata
